;; amdgpu-corpus repo=triton-lang/triton kind=triton arch=gfx1201 opt=O3 lang=triton
	.amdgcn_target "amdgcn-amd-amdhsa--gfx1201"
	.amdhsa_code_object_version 5
	.text
	.globl	mxfp_to_bf16_kernel             ; -- Begin function mxfp_to_bf16_kernel
	.p2align	8
	.type	mxfp_to_bf16_kernel,@function
mxfp_to_bf16_kernel:                    ; @mxfp_to_bf16_kernel
.Lfunc_begin0:
	.cfi_sections .debug_frame
	.cfi_startproc
; %bb.0:
	.file	1 "/root/src/amdgpu-assembly/repos/triton-lang__triton-aot" "mxfp_to_bf16.py"
	.loc	1 74 33 prologue_end            ; mxfp_to_bf16.py:74:33
	s_bfe_u32 s2, ttmp8, 0x50019
	s_load_b32 s6, s[0:1], 0x18
	.loc	1 27 73                         ; mxfp_to_bf16.py:27:73
	s_lshl_b32 s2, s2, 5
	v_dual_mov_b32 v3, 0 :: v_dual_and_b32 v6, 15, v0
	v_and_or_b32 v1, v0, 31, s2
	s_load_b64 s[2:3], s[0:1], 0x0
	.loc	1 27 34 is_stmt 0               ; mxfp_to_bf16.py:27:34
	s_lshl_b32 s4, ttmp9, 8
	.loc	1 29 16 is_stmt 1               ; mxfp_to_bf16.py:29:16
	s_mov_b32 s7, exec_lo
	s_delay_alu instid0(VALU_DEP_1) | instskip(NEXT) | instid1(VALU_DEP_1)
	.loc	1 27 73                         ; mxfp_to_bf16.py:27:73
	v_bfe_u32 v4, v1, 4, 3
	.loc	1 27 84 is_stmt 0               ; mxfp_to_bf16.py:27:84
	v_lshlrev_b32_e32 v2, 4, v4
	s_delay_alu instid0(VALU_DEP_1)
	.loc	1 28 15 is_stmt 1               ; mxfp_to_bf16.py:28:15
	v_or3_b32 v5, v2, s4, v6
	v_mov_b32_e32 v2, 0
	.loc	1 29 52                         ; mxfp_to_bf16.py:29:52
	s_wait_kmcnt 0x0
	s_lshl_b32 s5, s6, 4
	.loc	1 29 48 is_stmt 0               ; mxfp_to_bf16.py:29:48
	s_wait_alu depctr_sa_sdst(0)
	v_cmpx_gt_i32_e64 s5, v5
	.loc	1 29 16                         ; mxfp_to_bf16.py:29:16
	s_cbranch_execz .LBB0_2
; %bb.1:
	.loc	1 0 16                          ; mxfp_to_bf16.py:0:16
	v_ashrrev_i32_e32 v3, 31, v5
	v_add_co_u32 v7, vcc_lo, s2, v5
	s_delay_alu instid0(VALU_DEP_1)
	v_add_co_ci_u32_e64 v8, null, s3, v3, vcc_lo
	.loc	1 29 16                         ; mxfp_to_bf16.py:29:16
	global_load_u8 v3, v[7:8], off
.LBB0_2:
	.loc	1 0 16                          ; mxfp_to_bf16.py:0:16
	s_or_b32 exec_lo, exec_lo, s7
	.loc	1 27 73 is_stmt 1               ; mxfp_to_bf16.py:27:73
	v_or_b32_e32 v5, 8, v4
	s_delay_alu instid0(VALU_DEP_1) | instskip(NEXT) | instid1(VALU_DEP_1)
	.loc	1 27 84 is_stmt 0               ; mxfp_to_bf16.py:27:84
	v_lshlrev_b32_e32 v7, 4, v5
	.loc	1 28 15 is_stmt 1               ; mxfp_to_bf16.py:28:15
	v_or3_b32 v6, v7, s4, v6
	.loc	1 29 16                         ; mxfp_to_bf16.py:29:16
	s_mov_b32 s4, exec_lo
	s_delay_alu instid0(VALU_DEP_1)
	.loc	1 29 48 is_stmt 0               ; mxfp_to_bf16.py:29:48
	v_cmpx_gt_i32_e64 s5, v6
	.loc	1 29 16                         ; mxfp_to_bf16.py:29:16
	s_cbranch_execz .LBB0_4
; %bb.3:
	.loc	1 29 24                         ; mxfp_to_bf16.py:29:24
	v_ashrrev_i32_e32 v2, 31, v6
	v_add_co_u32 v6, vcc_lo, s2, v6
	s_wait_alu depctr_va_vcc(0)
	s_delay_alu instid0(VALU_DEP_2)
	v_add_co_ci_u32_e64 v7, null, s3, v2, vcc_lo
	.loc	1 29 16                         ; mxfp_to_bf16.py:29:16
	global_load_u8 v2, v[6:7], off
.LBB0_4:
	.loc	1 0 16                          ; mxfp_to_bf16.py:0:16
	s_wait_alu depctr_sa_sdst(0)
	s_or_b32 exec_lo, exec_lo, s4
	s_load_b128 s[0:3], s[0:1], 0x8
	.loc	1 31 33 is_stmt 1               ; mxfp_to_bf16.py:31:33
	s_lshl_b32 s4, ttmp9, 4
	v_dual_mov_b32 v6, 0 :: v_dual_mov_b32 v7, 0
	.loc	1 31 48 is_stmt 0               ; mxfp_to_bf16.py:31:48
	s_wait_alu depctr_sa_sdst(0)
	v_or_b32_e32 v8, s4, v4
	.loc	1 32 20 is_stmt 1               ; mxfp_to_bf16.py:32:20
	s_mov_b32 s5, exec_lo
	s_delay_alu instid0(VALU_DEP_1)
	.loc	1 32 56 is_stmt 0               ; mxfp_to_bf16.py:32:56
	v_cmpx_gt_i32_e64 s6, v8
	.loc	1 32 20                         ; mxfp_to_bf16.py:32:20
	s_cbranch_execz .LBB0_6
; %bb.5:
	.loc	1 0 20                          ; mxfp_to_bf16.py:0:20
	v_ashrrev_i32_e32 v9, 31, v8
	s_wait_kmcnt 0x0
	v_add_co_u32 v7, vcc_lo, s0, v8
	s_wait_alu depctr_va_vcc(0)
	s_delay_alu instid0(VALU_DEP_2)
	v_add_co_ci_u32_e64 v8, null, s1, v9, vcc_lo
	.loc	1 32 20                         ; mxfp_to_bf16.py:32:20
	global_load_u8 v7, v[7:8], off
.LBB0_6:
	.loc	1 0 20                          ; mxfp_to_bf16.py:0:20
	s_wait_alu depctr_sa_sdst(0)
	s_or_b32 exec_lo, exec_lo, s5
	.loc	1 31 48 is_stmt 1               ; mxfp_to_bf16.py:31:48
	v_or_b32_e32 v5, s4, v5
	.loc	1 32 20                         ; mxfp_to_bf16.py:32:20
	s_mov_b32 s7, exec_lo
	s_delay_alu instid0(VALU_DEP_1)
	.loc	1 32 56 is_stmt 0               ; mxfp_to_bf16.py:32:56
	v_cmpx_gt_i32_e64 s6, v5
	.loc	1 32 20                         ; mxfp_to_bf16.py:32:20
	s_cbranch_execz .LBB0_8
; %bb.7:
	.loc	1 32 32                         ; mxfp_to_bf16.py:32:32
	s_ashr_i32 s5, s4, 31
	s_wait_kmcnt 0x0
	s_wait_alu depctr_sa_sdst(0)
	s_add_nc_u64 s[0:1], s[0:1], s[4:5]
	.loc	1 32 20                         ; mxfp_to_bf16.py:32:20
	global_load_u8 v6, v4, s[0:1] offset:8
.LBB0_8:
	.loc	1 0 20                          ; mxfp_to_bf16.py:0:20
	s_wait_alu depctr_sa_sdst(0)
	s_or_b32 exec_lo, exec_lo, s7
	.loc	1 32 20                         ; mxfp_to_bf16.py:32:20
	s_wait_loadcnt 0x0
	v_and_b32_e32 v4, 0xff, v7
	.loc	1 55 18 is_stmt 1               ; mxfp_to_bf16.py:55:18
	v_and_b32_e32 v7, 7, v2
	.loc	1 57 58                         ; mxfp_to_bf16.py:57:58
	v_and_b32_e32 v11, 8, v2
	.loc	1 56 18                         ; mxfp_to_bf16.py:56:18
	;; [unrolled: 2-line block ×4, first 2 shown]
	v_and_b32_e32 v8, 8, v3
	.loc	1 57 35 is_stmt 0               ; mxfp_to_bf16.py:57:35
	v_lshlrev_b16 v12, 6, v7
	.loc	1 57 72                         ; mxfp_to_bf16.py:57:72
	v_lshlrev_b16 v11, 12, v11
	.loc	1 58 36 is_stmt 1               ; mxfp_to_bf16.py:58:36
	v_lshlrev_b16 v17, 2, v13
	.loc	1 58 72 is_stmt 0               ; mxfp_to_bf16.py:58:72
	;; [unrolled: 2-line block ×3, first 2 shown]
	v_lshlrev_b16 v8, 12, v8
	.loc	1 56 18                         ; mxfp_to_bf16.py:56:18
	v_and_b32_e32 v15, 0x70, v2
	.loc	1 57 45                         ; mxfp_to_bf16.py:57:45
	v_or_b32_e32 v11, v12, v11
	.loc	1 58 57                         ; mxfp_to_bf16.py:58:57
	v_and_b32_e32 v16, 0x80, v2
	.loc	1 58 43 is_stmt 0               ; mxfp_to_bf16.py:58:43
	v_or_b32_e32 v12, v17, v14
	.loc	1 61 29 is_stmt 1               ; mxfp_to_bf16.py:61:29
	v_and_b32_e32 v14, 6, v3
	.loc	1 74 33                         ; mxfp_to_bf16.py:74:33
	v_bfe_i32 v0, v0, 0, 1
	.loc	1 61 46                         ; mxfp_to_bf16.py:61:46
	v_add_nc_u16 v18, 0x3f00, v11
	.loc	1 58 72                         ; mxfp_to_bf16.py:58:72
	v_lshlrev_b16 v16, 8, v16
	.loc	1 74 68                         ; mxfp_to_bf16.py:74:68
	s_wait_kmcnt 0x0
	s_lshl_b32 s1, s6, 5
	.loc	1 61 37                         ; mxfp_to_bf16.py:61:37
	v_cmp_eq_u16_e32 vcc_lo, 0, v14
	.loc	1 55 18                         ; mxfp_to_bf16.py:55:18
	v_and_b32_e32 v5, 7, v3
	.loc	1 62 29                         ; mxfp_to_bf16.py:62:29
	v_and_b32_e32 v3, 0x60, v3
	.loc	1 62 47 is_stmt 0               ; mxfp_to_bf16.py:62:47
	v_add_nc_u16 v14, 0x3f00, v12
	.loc	1 74 33 is_stmt 1               ; mxfp_to_bf16.py:74:33
	v_and_b32_e32 v0, 0x240, v0
	s_delay_alu instid0(VALU_DEP_4) | instskip(NEXT) | instid1(VALU_DEP_1)
	.loc	1 57 35                         ; mxfp_to_bf16.py:57:35
	v_lshlrev_b16 v10, 6, v5
	.loc	1 57 45 is_stmt 0               ; mxfp_to_bf16.py:57:45
	v_or_b32_e32 v8, v10, v8
	.loc	1 58 36 is_stmt 1               ; mxfp_to_bf16.py:58:36
	v_lshlrev_b16 v10, 2, v15
	s_delay_alu instid0(VALU_DEP_2) | instskip(NEXT) | instid1(VALU_DEP_2)
	.loc	1 61 46                         ; mxfp_to_bf16.py:61:46
	v_add_nc_u16 v17, 0x3f00, v8
	.loc	1 58 43                         ; mxfp_to_bf16.py:58:43
	v_or_b32_e32 v10, v10, v16
	.loc	1 61 29                         ; mxfp_to_bf16.py:61:29
	v_and_b32_e32 v16, 6, v2
	.loc	1 62 29                         ; mxfp_to_bf16.py:62:29
	v_and_b32_e32 v2, 0x60, v2
	.loc	1 61 63                         ; mxfp_to_bf16.py:61:63
	s_wait_alu depctr_va_vcc(0)
	v_cndmask_b32_e32 v8, v17, v8, vcc_lo
	s_delay_alu instid0(VALU_DEP_3)
	.loc	1 61 37 is_stmt 0               ; mxfp_to_bf16.py:61:37
	v_cmp_eq_u16_e32 vcc_lo, 0, v16
	.loc	1 32 20 is_stmt 1               ; mxfp_to_bf16.py:32:20
	v_and_b32_e32 v6, 0xff, v6
	.loc	1 62 47                         ; mxfp_to_bf16.py:62:47
	v_add_nc_u16 v16, 0x3f00, v10
	.loc	1 61 63                         ; mxfp_to_bf16.py:61:63
	s_wait_alu depctr_va_vcc(0)
	v_cndmask_b32_e32 v11, v18, v11, vcc_lo
	.loc	1 62 38                         ; mxfp_to_bf16.py:62:38
	v_cmp_eq_u16_e32 vcc_lo, 0, v3
	.loc	1 71 29                         ; mxfp_to_bf16.py:71:29
	v_cmp_eq_u16_e64 s0, 0xff, v6
	.loc	1 62 64                         ; mxfp_to_bf16.py:62:64
	s_wait_alu depctr_va_vcc(0)
	v_cndmask_b32_e32 v3, v14, v12, vcc_lo
	.loc	1 64 48                         ; mxfp_to_bf16.py:64:48
	v_and_b32_e32 v12, 0xffff8000, v8
	.loc	1 62 38                         ; mxfp_to_bf16.py:62:38
	v_cmp_eq_u16_e32 vcc_lo, 0, v2
	.loc	1 36 41                         ; mxfp_to_bf16.py:36:41
	v_lshlrev_b16 v9, 7, v4
	v_lshlrev_b16 v14, 7, v6
	s_delay_alu instid0(VALU_DEP_4)
	.loc	1 64 43                         ; mxfp_to_bf16.py:64:43
	v_or_b32_e32 v12, 0x3f00, v12
	.loc	1 62 64                         ; mxfp_to_bf16.py:62:64
	s_wait_alu depctr_va_vcc(0)
	v_cndmask_b32_e32 v2, v16, v10, vcc_lo
	.loc	1 64 48                         ; mxfp_to_bf16.py:64:48
	v_and_b32_e32 v10, 0xffff8000, v11
	.loc	1 64 29 is_stmt 0               ; mxfp_to_bf16.py:64:29
	v_cmp_eq_u16_e32 vcc_lo, 1, v5
	.loc	1 65 49 is_stmt 1               ; mxfp_to_bf16.py:65:49
	v_and_b32_e32 v16, 0xffff8000, v3
	s_delay_alu instid0(VALU_DEP_4) | instskip(NEXT) | instid1(VALU_DEP_4)
	v_and_b32_e32 v17, 0xffff8000, v2
	.loc	1 64 43                         ; mxfp_to_bf16.py:64:43
	v_or_b32_e32 v10, 0x3f00, v10
	.loc	1 64 57 is_stmt 0               ; mxfp_to_bf16.py:64:57
	s_wait_alu depctr_va_vcc(0)
	v_cndmask_b32_e32 v5, v8, v12, vcc_lo
	.loc	1 64 29                         ; mxfp_to_bf16.py:64:29
	v_cmp_eq_u16_e32 vcc_lo, 1, v7
	.loc	1 65 44 is_stmt 1               ; mxfp_to_bf16.py:65:44
	v_or_b32_e32 v8, 0x3f00, v16
	v_or_b32_e32 v12, 0x3f00, v17
	s_delay_alu instid0(VALU_DEP_4) | instskip(SKIP_3) | instid1(VALU_DEP_2)
	.loc	1 69 20                         ; mxfp_to_bf16.py:69:20
	v_perm_b32 v5, 0, v5, 0x5040100
	.loc	1 64 57                         ; mxfp_to_bf16.py:64:57
	s_wait_alu depctr_va_vcc(0)
	v_cndmask_b32_e32 v7, v11, v10, vcc_lo
	.loc	1 65 29                         ; mxfp_to_bf16.py:65:29
	v_cmp_eq_u16_e32 vcc_lo, 16, v13
	.loc	1 69 20                         ; mxfp_to_bf16.py:69:20
	v_perm_b32 v7, 0, v7, 0x5040100
	.loc	1 65 58                         ; mxfp_to_bf16.py:65:58
	s_wait_alu depctr_va_vcc(0)
	v_cndmask_b32_e32 v3, v3, v8, vcc_lo
	.loc	1 65 29 is_stmt 0               ; mxfp_to_bf16.py:65:29
	v_cmp_eq_u16_e32 vcc_lo, 16, v15
	.loc	1 69 20 is_stmt 1               ; mxfp_to_bf16.py:69:20
	v_perm_b32 v8, 0, v9, 0x5040100
	v_perm_b32 v9, 0, v14, 0x5040100
	s_delay_alu instid0(VALU_DEP_4)
	v_perm_b32 v3, 0, v3, 0x5040100
	.loc	1 65 58                         ; mxfp_to_bf16.py:65:58
	s_wait_alu depctr_va_vcc(0)
	v_cndmask_b32_e32 v2, v2, v12, vcc_lo
	.loc	1 69 20                         ; mxfp_to_bf16.py:69:20
	v_dot2_bf16_bf16 v5, v5, v8, 0
	v_dot2_bf16_bf16 v7, v7, v9, 0
	.loc	1 71 29                         ; mxfp_to_bf16.py:71:29
	v_cmp_eq_u16_e32 vcc_lo, 0xff, v4
	.loc	1 69 20                         ; mxfp_to_bf16.py:69:20
	v_dot2_bf16_bf16 v3, v3, v8, 0
	v_perm_b32 v2, 0, v2, 0x5040100
	.loc	1 73 59                         ; mxfp_to_bf16.py:73:59
	v_and_b32_e32 v8, 0x7f, v1
	.loc	1 71 49                         ; mxfp_to_bf16.py:71:49
	s_wait_alu depctr_va_sdst(0)
	v_cndmask_b32_e64 v6, v7, 0x7fc0, s0
	s_wait_alu depctr_va_vcc(0)
	v_cndmask_b32_e64 v4, v5, 0x7fc0, vcc_lo
	v_cndmask_b32_e64 v3, v3, 0x7fc0, vcc_lo
	.loc	1 69 20                         ; mxfp_to_bf16.py:69:20
	v_dot2_bf16_bf16 v2, v2, v9, 0
	.loc	1 74 33                         ; mxfp_to_bf16.py:74:33
	v_lshlrev_b32_e32 v5, 2, v8
	v_lshlrev_b32_e32 v1, 1, v1
	v_perm_b32 v4, v6, v4, 0x5040100
	s_delay_alu instid0(VALU_DEP_4) | instskip(NEXT) | instid1(VALU_DEP_4)
	.loc	1 71 49                         ; mxfp_to_bf16.py:71:49
	v_cndmask_b32_e64 v2, v2, 0x7fc0, s0
	.loc	1 74 33                         ; mxfp_to_bf16.py:74:33
	v_add_nc_u32_e32 v7, 0, v5
	v_xad_u32 v5, v5, 64, 0
	v_and_b32_e32 v1, 0xfc, v1
	s_delay_alu instid0(VALU_DEP_4)
	v_perm_b32 v2, v2, v3, 0x5040100
	ds_store_b32 v7, v4
	ds_store_b32 v5, v2 offset:512
	s_wait_dscnt 0x0
	s_barrier_signal -1
	v_xad_u32 v0, v1, v0, 0
	.loc	1 73 46                         ; mxfp_to_bf16.py:73:46
	v_lshl_or_b32 v4, ttmp9, 9, v8
	s_delay_alu instid0(VALU_DEP_1) | instskip(NEXT) | instid1(VALU_DEP_1)
	.loc	1 74 24                         ; mxfp_to_bf16.py:74:24
	v_ashrrev_i32_e32 v5, 31, v4
	v_lshlrev_b64_e32 v[2:3], 1, v[4:5]
	.loc	1 74 33 is_stmt 0               ; mxfp_to_bf16.py:74:33
	s_barrier_wait -1
	global_inv scope:SCOPE_SE
	ds_load_2addr_stride64_b32 v[0:1], v0 offset1:1
	.loc	1 74 24                         ; mxfp_to_bf16.py:74:24
	v_add_co_u32 v2, s0, s2, v2
	s_wait_alu depctr_va_sdst(0)
	v_add_co_ci_u32_e64 v3, null, s3, v3, s0
	.loc	1 74 33                         ; mxfp_to_bf16.py:74:33
	s_mov_b32 s0, exec_lo
	.loc	1 74 64                         ; mxfp_to_bf16.py:74:64
	s_wait_alu depctr_sa_sdst(0)
	v_cmpx_gt_i32_e64 s1, v4
	.loc	1 74 33                         ; mxfp_to_bf16.py:74:33
	s_cbranch_execz .LBB0_10
; %bb.9:
	s_wait_dscnt 0x0
	global_store_b16 v[2:3], v0, off
.LBB0_10:
	.loc	1 0 33                          ; mxfp_to_bf16.py:0:33
	s_or_b32 exec_lo, exec_lo, s0
	.loc	1 73 46 is_stmt 1               ; mxfp_to_bf16.py:73:46
	v_or_b32_e32 v5, 0x80, v4
	.loc	1 74 33                         ; mxfp_to_bf16.py:74:33
	s_mov_b32 s0, exec_lo
	s_delay_alu instid0(VALU_DEP_1)
	.loc	1 74 64 is_stmt 0               ; mxfp_to_bf16.py:74:64
	v_cmpx_gt_i32_e64 s1, v5
	.loc	1 74 33                         ; mxfp_to_bf16.py:74:33
	s_cbranch_execz .LBB0_12
; %bb.11:
	s_wait_dscnt 0x0
	global_store_b16 v[2:3], v1, off offset:256
.LBB0_12:
	.loc	1 0 33                          ; mxfp_to_bf16.py:0:33
	s_wait_alu depctr_sa_sdst(0)
	s_or_b32 exec_lo, exec_lo, s0
	.loc	1 73 46 is_stmt 1               ; mxfp_to_bf16.py:73:46
	v_or_b32_e32 v5, 0x100, v4
	.loc	1 74 33                         ; mxfp_to_bf16.py:74:33
	s_mov_b32 s0, exec_lo
	s_delay_alu instid0(VALU_DEP_1)
	.loc	1 74 64 is_stmt 0               ; mxfp_to_bf16.py:74:64
	v_cmpx_gt_i32_e64 s1, v5
	.loc	1 74 33                         ; mxfp_to_bf16.py:74:33
	s_cbranch_execz .LBB0_14
; %bb.13:
	s_wait_dscnt 0x0
	global_store_d16_hi_b16 v[2:3], v0, off offset:512
.LBB0_14:
	.loc	1 0 33                          ; mxfp_to_bf16.py:0:33
	s_wait_alu depctr_sa_sdst(0)
	s_or_b32 exec_lo, exec_lo, s0
	.loc	1 73 46 is_stmt 1               ; mxfp_to_bf16.py:73:46
	s_wait_dscnt 0x0
	v_or_b32_e32 v0, 0x180, v4
	.loc	1 74 33                         ; mxfp_to_bf16.py:74:33
	s_mov_b32 s0, exec_lo
	s_delay_alu instid0(VALU_DEP_1)
	.loc	1 74 64 is_stmt 0               ; mxfp_to_bf16.py:74:64
	v_cmpx_gt_i32_e64 s1, v0
	.loc	1 74 33                         ; mxfp_to_bf16.py:74:33
	s_cbranch_execz .LBB0_16
; %bb.15:
	global_store_d16_hi_b16 v[2:3], v1, off offset:768
.LBB0_16:
	.loc	1 74 4                          ; mxfp_to_bf16.py:74:4
	s_endpgm
.Ltmp0:
	.section	.rodata,"a",@progbits
	.p2align	6, 0x0
	.amdhsa_kernel mxfp_to_bf16_kernel
		.amdhsa_group_segment_fixed_size 0
		.amdhsa_private_segment_fixed_size 0
		.amdhsa_kernarg_size 48
		.amdhsa_user_sgpr_count 2
		.amdhsa_user_sgpr_dispatch_ptr 0
		.amdhsa_user_sgpr_queue_ptr 0
		.amdhsa_user_sgpr_kernarg_segment_ptr 1
		.amdhsa_user_sgpr_dispatch_id 0
		.amdhsa_user_sgpr_private_segment_size 0
		.amdhsa_wavefront_size32 1
		.amdhsa_uses_dynamic_stack 0
		.amdhsa_enable_private_segment 0
		.amdhsa_system_sgpr_workgroup_id_x 1
		.amdhsa_system_sgpr_workgroup_id_y 1
		.amdhsa_system_sgpr_workgroup_id_z 1
		.amdhsa_system_sgpr_workgroup_info 0
		.amdhsa_system_vgpr_workitem_id 0
		.amdhsa_next_free_vgpr 19
		.amdhsa_next_free_sgpr 8
		.amdhsa_reserve_vcc 1
		.amdhsa_float_round_mode_32 0
		.amdhsa_float_round_mode_16_64 0
		.amdhsa_float_denorm_mode_32 3
		.amdhsa_float_denorm_mode_16_64 3
		.amdhsa_fp16_overflow 0
		.amdhsa_workgroup_processor_mode 1
		.amdhsa_memory_ordered 1
		.amdhsa_forward_progress 1
		.amdhsa_inst_pref_size 11
		.amdhsa_round_robin_scheduling 0
		.amdhsa_exception_fp_ieee_invalid_op 0
		.amdhsa_exception_fp_denorm_src 0
		.amdhsa_exception_fp_ieee_div_zero 0
		.amdhsa_exception_fp_ieee_overflow 0
		.amdhsa_exception_fp_ieee_underflow 0
		.amdhsa_exception_fp_ieee_inexact 0
		.amdhsa_exception_int_div_zero 0
	.end_amdhsa_kernel
	.text
.Lfunc_end0:
	.size	mxfp_to_bf16_kernel, .Lfunc_end0-mxfp_to_bf16_kernel
	.cfi_endproc
                                        ; -- End function
	.set mxfp_to_bf16_kernel.num_vgpr, 19
	.set mxfp_to_bf16_kernel.num_agpr, 0
	.set mxfp_to_bf16_kernel.numbered_sgpr, 8
	.set mxfp_to_bf16_kernel.num_named_barrier, 0
	.set mxfp_to_bf16_kernel.private_seg_size, 0
	.set mxfp_to_bf16_kernel.uses_vcc, 1
	.set mxfp_to_bf16_kernel.uses_flat_scratch, 0
	.set mxfp_to_bf16_kernel.has_dyn_sized_stack, 0
	.set mxfp_to_bf16_kernel.has_recursion, 0
	.set mxfp_to_bf16_kernel.has_indirect_call, 0
	.section	.AMDGPU.csdata,"",@progbits
; Kernel info:
; codeLenInByte = 1380
; TotalNumSgprs: 10
; NumVgprs: 19
; ScratchSize: 0
; MemoryBound: 0
; FloatMode: 240
; IeeeMode: 1
; LDSByteSize: 0 bytes/workgroup (compile time only)
; SGPRBlocks: 0
; VGPRBlocks: 2
; NumSGPRsForWavesPerEU: 10
; NumVGPRsForWavesPerEU: 19
; Occupancy: 16
; WaveLimiterHint : 0
; COMPUTE_PGM_RSRC2:SCRATCH_EN: 0
; COMPUTE_PGM_RSRC2:USER_SGPR: 2
; COMPUTE_PGM_RSRC2:TRAP_HANDLER: 0
; COMPUTE_PGM_RSRC2:TGID_X_EN: 1
; COMPUTE_PGM_RSRC2:TGID_Y_EN: 1
; COMPUTE_PGM_RSRC2:TGID_Z_EN: 1
; COMPUTE_PGM_RSRC2:TIDIG_COMP_CNT: 0
	.text
	.p2alignl 7, 3214868480
	.fill 96, 4, 3214868480
	.section	.AMDGPU.gpr_maximums,"",@progbits
	.set amdgpu.max_num_vgpr, 0
	.set amdgpu.max_num_agpr, 0
	.set amdgpu.max_num_sgpr, 0
	.set amdgpu.max_num_named_barrier, 0
	.text
	.section	.debug_abbrev,"",@progbits
	.byte	1                               ; Abbreviation Code
	.byte	17                              ; DW_TAG_compile_unit
	.byte	0                               ; DW_CHILDREN_no
	.byte	37                              ; DW_AT_producer
	.byte	14                              ; DW_FORM_strp
	.byte	19                              ; DW_AT_language
	.byte	5                               ; DW_FORM_data2
	.byte	3                               ; DW_AT_name
	.byte	14                              ; DW_FORM_strp
	.byte	16                              ; DW_AT_stmt_list
	.byte	23                              ; DW_FORM_sec_offset
	.byte	27                              ; DW_AT_comp_dir
	.byte	14                              ; DW_FORM_strp
	.byte	17                              ; DW_AT_low_pc
	.byte	1                               ; DW_FORM_addr
	.byte	18                              ; DW_AT_high_pc
	.byte	6                               ; DW_FORM_data4
	.byte	0                               ; EOM(1)
	.byte	0                               ; EOM(2)
	;; [unrolled: 1-line block ×3, first 2 shown]
	.section	.debug_info,"",@progbits
.Lcu_begin0:
	.long	.Ldebug_info_end0-.Ldebug_info_start0 ; Length of Unit
.Ldebug_info_start0:
	.short	4                               ; DWARF version number
	.long	.debug_abbrev                   ; Offset Into Abbrev. Section
	.byte	8                               ; Address Size (in bytes)
	.byte	1                               ; Abbrev [1] 0xb:0x1f DW_TAG_compile_unit
	.long	.Linfo_string0                  ; DW_AT_producer
	.short	2                               ; DW_AT_language
	.long	.Linfo_string1                  ; DW_AT_name
	.long	.Lline_table_start0             ; DW_AT_stmt_list
	.long	.Linfo_string2                  ; DW_AT_comp_dir
	.quad	.Lfunc_begin0                   ; DW_AT_low_pc
	.long	.Lfunc_end0-.Lfunc_begin0       ; DW_AT_high_pc
.Ldebug_info_end0:
	.section	.debug_str,"MS",@progbits,1
.Linfo_string0:
	.asciz	"triton"                        ; string offset=0
.Linfo_string1:
	.asciz	"mxfp_to_bf16.py"               ; string offset=7
.Linfo_string2:
	.asciz	"/root/src/amdgpu-assembly/repos/triton-lang__triton-aot" ; string offset=23
	.section	".note.GNU-stack","",@progbits
	.amdgpu_metadata
---
amdhsa.kernels:
  - .args:
      - .address_space:  global
        .offset:         0
        .size:           8
        .value_kind:     global_buffer
      - .address_space:  global
        .offset:         8
        .size:           8
        .value_kind:     global_buffer
      - .address_space:  global
        .offset:         16
        .size:           8
        .value_kind:     global_buffer
      - .offset:         24
        .size:           4
        .value_kind:     by_value
      - .address_space:  global
        .offset:         32
        .size:           8
        .value_kind:     global_buffer
      - .address_space:  global
        .offset:         40
        .size:           8
        .value_kind:     global_buffer
    .group_segment_fixed_size: 0
    .kernarg_segment_align: 8
    .kernarg_segment_size: 48
    .max_flat_workgroup_size: 128
    .name:           mxfp_to_bf16_kernel
    .private_segment_fixed_size: 0
    .sgpr_count:     10
    .sgpr_spill_count: 0
    .symbol:         mxfp_to_bf16_kernel.kd
    .uniform_work_group_size: 1
    .uses_dynamic_stack: false
    .vgpr_count:     19
    .vgpr_spill_count: 0
    .wavefront_size: 32
    .workgroup_processor_mode: 1
amdhsa.target:   amdgcn-amd-amdhsa--gfx1201
amdhsa.version:
  - 1
  - 2
...

	.end_amdgpu_metadata
	.section	.debug_line,"",@progbits
.Lline_table_start0:
